;; amdgpu-corpus repo=LLNL/RAJAPerf kind=compiled arch=gfx90a opt=O3
	.text
	.amdgcn_target "amdgcn-amd-amdhsa--gfx90a"
	.amdhsa_code_object_version 6
	.section	.text._ZN8rajaperf4apps8Mass3DPAILm25EEEvPdS2_S2_S2_S2_,"axG",@progbits,_ZN8rajaperf4apps8Mass3DPAILm25EEEvPdS2_S2_S2_S2_,comdat
	.protected	_ZN8rajaperf4apps8Mass3DPAILm25EEEvPdS2_S2_S2_S2_ ; -- Begin function _ZN8rajaperf4apps8Mass3DPAILm25EEEvPdS2_S2_S2_S2_
	.globl	_ZN8rajaperf4apps8Mass3DPAILm25EEEvPdS2_S2_S2_S2_
	.p2align	8
	.type	_ZN8rajaperf4apps8Mass3DPAILm25EEEvPdS2_S2_S2_S2_,@function
_ZN8rajaperf4apps8Mass3DPAILm25EEEvPdS2_S2_S2_S2_: ; @_ZN8rajaperf4apps8Mass3DPAILm25EEEvPdS2_S2_S2_S2_
; %bb.0:
	s_load_dwordx8 s[8:15], s[4:5], 0x0
	s_load_dwordx2 s[16:17], s[4:5], 0x20
	v_bfe_u32 v1, v0, 10, 10
	s_mov_b32 s7, 0
	v_cmp_gt_u32_e32 vcc, 4, v1
	s_and_saveexec_b64 s[2:3], vcc
	s_cbranch_execz .LBB0_5
; %bb.1:
	v_and_b32_e32 v2, 0x3ff, v0
	v_cmp_gt_u32_e64 s[0:1], 4, v2
	v_lshlrev_b32_e32 v3, 3, v2
	s_and_saveexec_b64 s[4:5], s[0:1]
	s_cbranch_execz .LBB0_3
; %bb.2:
	s_lshl_b64 s[0:1], s[6:7], 6
	v_lshl_or_b32 v4, v1, 2, s0
	v_mov_b32_e32 v5, s1
	v_or_b32_e32 v4, v4, v2
	v_lshlrev_b64 v[4:5], 3, v[4:5]
	s_waitcnt lgkmcnt(0)
	v_mov_b32_e32 v6, s15
	v_add_co_u32_e64 v4, s[0:1], s14, v4
	v_addc_co_u32_e64 v5, s[0:1], v6, v5, s[0:1]
	global_load_dwordx2 v[6:7], v[4:5], off
	global_load_dwordx2 v[8:9], v[4:5], off offset:128
	global_load_dwordx2 v[10:11], v[4:5], off offset:256
	;; [unrolled: 1-line block ×3, first 2 shown]
	v_lshl_add_u32 v4, v1, 5, v3
	s_waitcnt vmcnt(2)
	ds_write2_b64 v4, v[6:7], v[8:9] offset1:16
	s_waitcnt vmcnt(0)
	ds_write2_b64 v4, v[10:11], v[12:13] offset0:32 offset1:48
.LBB0_3:
	s_or_b64 exec, exec, s[4:5]
	v_cmp_gt_u32_e64 s[0:1], 5, v2
	s_and_saveexec_b64 s[4:5], s[0:1]
	s_xor_b64 s[4:5], exec, s[4:5]
	s_cbranch_execz .LBB0_5
; %bb.4:
	s_waitcnt lgkmcnt(0)
	v_mov_b32_e32 v4, s8
	v_mov_b32_e32 v5, s9
	v_mad_u64_u32 v[4:5], s[0:1], v1, 40, v[4:5]
	v_add_co_u32_e64 v4, s[0:1], v4, v3
	v_addc_co_u32_e64 v5, s[0:1], 0, v5, s[0:1]
	global_load_dwordx2 v[4:5], v[4:5], off
	v_lshlrev_b32_e32 v3, 3, v1
	v_lshl_add_u32 v2, v2, 5, v3
	s_waitcnt vmcnt(0)
	ds_write_b64 v2, v[4:5] offset:2016
.LBB0_5:
	s_or_b64 exec, exec, s[2:3]
	s_waitcnt lgkmcnt(0)
	; wave barrier
	s_waitcnt lgkmcnt(0)
	s_and_saveexec_b64 s[2:3], vcc
	s_cbranch_execz .LBB0_8
; %bb.6:
	v_and_b32_e32 v2, 0x3ff, v0
	v_cmp_gt_u32_e64 s[0:1], 5, v2
	s_and_b64 exec, exec, s[0:1]
	s_cbranch_execz .LBB0_8
; %bb.7:
	v_lshlrev_b32_e32 v40, 5, v1
	v_lshlrev_b32_e32 v3, 5, v2
	ds_read_b128 v[4:7], v40
	ds_read_b128 v[8:11], v3 offset:2016
	ds_read_b128 v[12:15], v3 offset:2032
	;; [unrolled: 1-line block ×9, first 2 shown]
	s_waitcnt lgkmcnt(8)
	v_fma_f64 v[4:5], v[4:5], v[8:9], 0
	s_waitcnt lgkmcnt(5)
	v_fma_f64 v[20:21], v[20:21], v[8:9], 0
	;; [unrolled: 2-line block ×4, first 2 shown]
	v_fmac_f64_e32 v[4:5], v[6:7], v[10:11]
	v_fmac_f64_e32 v[20:21], v[22:23], v[10:11]
	;; [unrolled: 1-line block ×5, first 2 shown]
	s_waitcnt lgkmcnt(2)
	v_fmac_f64_e32 v[20:21], v[32:33], v[12:13]
	v_lshlrev_b32_e32 v2, 3, v2
	s_waitcnt lgkmcnt(1)
	v_fmac_f64_e32 v[24:25], v[36:37], v[12:13]
	s_waitcnt lgkmcnt(0)
	v_fmac_f64_e32 v[8:9], v[40:41], v[12:13]
	v_fmac_f64_e32 v[4:5], v[18:19], v[14:15]
	;; [unrolled: 1-line block ×3, first 2 shown]
	v_mad_u32_u24 v2, v1, 40, v2
	v_fmac_f64_e32 v[24:25], v[38:39], v[14:15]
	v_fmac_f64_e32 v[8:9], v[42:43], v[14:15]
	ds_write2_b64 v2, v[4:5], v[20:21] offset0:126 offset1:146
	ds_write2_b64 v2, v[24:25], v[8:9] offset0:166 offset1:186
.LBB0_8:
	s_or_b64 exec, exec, s[2:3]
	v_cmp_gt_u32_e64 s[0:1], 5, v1
	s_waitcnt lgkmcnt(0)
	; wave barrier
	s_waitcnt lgkmcnt(0)
	s_and_saveexec_b64 s[4:5], s[0:1]
	s_cbranch_execz .LBB0_11
; %bb.9:
	v_and_b32_e32 v2, 0x3ff, v0
	v_cmp_gt_u32_e64 s[2:3], 5, v2
	s_and_b64 exec, exec, s[2:3]
	s_cbranch_execz .LBB0_11
; %bb.10:
	v_lshlrev_b32_e32 v22, 5, v1
	v_lshlrev_b32_e32 v36, 3, v2
	ds_read2_b64 v[2:5], v36 offset0:126 offset1:131
	ds_read_b128 v[6:9], v22 offset:2016
	ds_read2_b64 v[10:13], v36 offset0:146 offset1:151
	ds_read2_b64 v[14:17], v36 offset0:166 offset1:171
	;; [unrolled: 1-line block ×3, first 2 shown]
	ds_read_b128 v[22:25], v22 offset:2032
	s_waitcnt lgkmcnt(4)
	v_fma_f64 v[30:31], v[2:3], v[6:7], 0
	s_waitcnt lgkmcnt(3)
	v_fma_f64 v[32:33], v[10:11], v[6:7], 0
	;; [unrolled: 2-line block ×3, first 2 shown]
	v_fmac_f64_e32 v[30:31], v[4:5], v[8:9]
	v_fmac_f64_e32 v[32:33], v[12:13], v[8:9]
	;; [unrolled: 1-line block ×3, first 2 shown]
	ds_read2_b64 v[2:5], v36 offset0:136 offset1:141
	ds_read2_b64 v[10:13], v36 offset0:156 offset1:161
	;; [unrolled: 1-line block ×4, first 2 shown]
	s_waitcnt lgkmcnt(5)
	v_fma_f64 v[6:7], v[18:19], v[6:7], 0
	v_fmac_f64_e32 v[6:7], v[20:21], v[8:9]
	s_waitcnt lgkmcnt(3)
	v_fmac_f64_e32 v[30:31], v[2:3], v[22:23]
	s_waitcnt lgkmcnt(2)
	;; [unrolled: 2-line block ×4, first 2 shown]
	v_fmac_f64_e32 v[6:7], v[26:27], v[22:23]
	v_fmac_f64_e32 v[30:31], v[4:5], v[24:25]
	;; [unrolled: 1-line block ×3, first 2 shown]
	v_mad_u32_u24 v2, v1, 40, v36
	v_fmac_f64_e32 v[34:35], v[16:17], v[24:25]
	v_fmac_f64_e32 v[6:7], v[28:29], v[24:25]
	ds_write2_b64 v2, v[30:31], v[32:33] offset1:25
	ds_write2_b64 v2, v[34:35], v[6:7] offset0:50 offset1:75
.LBB0_11:
	s_or_b64 exec, exec, s[4:5]
	s_waitcnt lgkmcnt(0)
	; wave barrier
	s_waitcnt lgkmcnt(0)
	s_and_saveexec_b64 s[4:5], s[0:1]
	s_cbranch_execz .LBB0_14
; %bb.12:
	v_and_b32_e32 v2, 0x3ff, v0
	v_cmp_gt_u32_e64 s[2:3], 5, v2
	s_and_b64 exec, exec, s[2:3]
	s_cbranch_execz .LBB0_14
; %bb.13:
	s_mul_i32 s2, s6, 0x3e8
	s_mul_hi_u32 s3, s6, 0x3e8
	s_add_u32 s2, s12, s2
	s_addc_u32 s3, s13, s3
	v_lshlrev_b32_e32 v4, 3, v2
	v_mad_u64_u32 v[2:3], s[2:3], v1, 40, s[2:3]
	v_add_co_u32_e64 v2, s[2:3], v2, v4
	v_addc_co_u32_e64 v3, s[2:3], 0, v3, s[2:3]
	global_load_dwordx2 v[46:47], v[2:3], off
	global_load_dwordx2 v[48:49], v[2:3], off offset:200
	global_load_dwordx2 v[50:51], v[2:3], off offset:400
	;; [unrolled: 1-line block ×4, first 2 shown]
	v_mov_b32_e32 v42, 0
	v_mad_u32_u24 v58, v1, 40, v4
	ds_read_b128 v[2:5], v42 offset:2016
	ds_read_b128 v[6:9], v42 offset:2032
	;; [unrolled: 1-line block ×6, first 2 shown]
	ds_read2_b64 v[26:29], v58 offset1:25
	ds_read_b128 v[30:33], v42 offset:2112
	ds_read_b128 v[34:37], v42 offset:2128
	;; [unrolled: 1-line block ×4, first 2 shown]
	s_waitcnt lgkmcnt(4)
	v_fma_f64 v[56:57], v[26:27], v[2:3], 0
	v_fmac_f64_e32 v[56:57], v[28:29], v[4:5]
	ds_read2_b64 v[2:5], v58 offset0:50 offset1:75
	v_fma_f64 v[10:11], v[26:27], v[10:11], 0
	v_fmac_f64_e32 v[10:11], v[28:29], v[12:13]
	v_fma_f64 v[12:13], v[26:27], v[18:19], 0
	s_waitcnt lgkmcnt(4)
	v_fma_f64 v[18:19], v[26:27], v[30:31], 0
	v_fmac_f64_e32 v[12:13], v[28:29], v[20:21]
	s_waitcnt lgkmcnt(2)
	v_fma_f64 v[20:21], v[26:27], v[38:39], 0
	v_fmac_f64_e32 v[18:19], v[28:29], v[32:33]
	v_fmac_f64_e32 v[20:21], v[28:29], v[40:41]
	s_waitcnt lgkmcnt(0)
	v_fmac_f64_e32 v[56:57], v[2:3], v[6:7]
	v_fmac_f64_e32 v[10:11], v[2:3], v[14:15]
	;; [unrolled: 1-line block ×10, first 2 shown]
	s_waitcnt vmcnt(4)
	v_mul_f64 v[2:3], v[56:57], v[46:47]
	s_waitcnt vmcnt(3)
	v_mul_f64 v[4:5], v[10:11], v[48:49]
	;; [unrolled: 2-line block ×5, first 2 shown]
	ds_write2_b64 v58, v[2:3], v[4:5] offset0:126 offset1:151
	ds_write2_b64 v58, v[6:7], v[8:9] offset0:176 offset1:201
	ds_write_b64 v58, v[10:11] offset:1808
.LBB0_14:
	s_or_b64 exec, exec, s[4:5]
	s_waitcnt lgkmcnt(0)
	; wave barrier
	s_waitcnt lgkmcnt(0)
	s_and_saveexec_b64 s[4:5], vcc
	s_cbranch_execz .LBB0_17
; %bb.15:
	v_and_b32_e32 v2, 0x3ff, v0
	v_cmp_gt_u32_e64 s[2:3], 5, v2
	s_and_b64 exec, exec, s[2:3]
	s_cbranch_execz .LBB0_17
; %bb.16:
	v_lshlrev_b32_e32 v3, 5, v1
	v_mov_b32_e32 v4, s11
	v_add_co_u32_e64 v3, s[2:3], s10, v3
	v_addc_co_u32_e64 v4, s[2:3], 0, v4, s[2:3]
	v_lshlrev_b32_e32 v5, 3, v2
	v_add_co_u32_e64 v2, s[2:3], v3, v5
	v_addc_co_u32_e64 v3, s[2:3], 0, v4, s[2:3]
	global_load_dwordx2 v[2:3], v[2:3], off
	v_mad_u32_u24 v4, v1, 40, v5
	s_waitcnt vmcnt(0)
	ds_write_b64 v4, v[2:3] offset:2016
.LBB0_17:
	s_or_b64 exec, exec, s[4:5]
	s_waitcnt lgkmcnt(0)
	; wave barrier
	s_waitcnt lgkmcnt(0)
	s_and_saveexec_b64 s[2:3], s[0:1]
	s_cbranch_execz .LBB0_20
; %bb.18:
	v_and_b32_e32 v2, 0x3ff, v0
	v_cmp_gt_u32_e64 s[0:1], 4, v2
	s_and_b64 exec, exec, s[0:1]
	s_cbranch_execz .LBB0_20
; %bb.19:
	v_mul_u32_u24_e32 v54, 40, v1
	v_mul_u32_u24_e32 v3, 40, v2
	ds_read2_b64 v[4:7], v54 offset0:126 offset1:127
	ds_read2_b64 v[8:11], v3 offset0:252 offset1:253
	;; [unrolled: 1-line block ×4, first 2 shown]
	ds_read_b64 v[48:49], v3 offset:2048
	ds_read2_b64 v[20:23], v54 offset0:128 offset1:129
	ds_read2_b64 v[24:27], v54 offset0:176 offset1:177
	;; [unrolled: 1-line block ×5, first 2 shown]
	s_waitcnt lgkmcnt(8)
	v_fma_f64 v[50:51], v[4:5], v[8:9], 0
	s_waitcnt lgkmcnt(7)
	v_fma_f64 v[52:53], v[12:13], v[8:9], 0
	ds_read2_b64 v[40:43], v54 offset0:178 offset1:179
	ds_read2_b64 v[44:47], v54 offset0:203 offset1:204
	s_waitcnt lgkmcnt(5)
	v_fma_f64 v[24:25], v[24:25], v[8:9], 0
	s_waitcnt lgkmcnt(4)
	v_fma_f64 v[28:29], v[28:29], v[8:9], 0
	;; [unrolled: 2-line block ×3, first 2 shown]
	v_fmac_f64_e32 v[50:51], v[6:7], v[10:11]
	ds_read2_b64 v[4:7], v54 offset0:228 offset1:229
	v_fmac_f64_e32 v[52:53], v[14:15], v[10:11]
	v_fmac_f64_e32 v[24:25], v[26:27], v[10:11]
	;; [unrolled: 1-line block ×4, first 2 shown]
	ds_read2_b64 v[8:11], v54 offset0:130 offset1:155
	v_fmac_f64_e32 v[50:51], v[20:21], v[16:17]
	ds_read_b64 v[20:21], v54 offset:1840
	ds_read2_b64 v[12:15], v54 offset0:180 offset1:205
	s_waitcnt lgkmcnt(6)
	v_fmac_f64_e32 v[52:53], v[36:37], v[16:17]
	s_waitcnt lgkmcnt(5)
	v_fmac_f64_e32 v[24:25], v[40:41], v[16:17]
	;; [unrolled: 2-line block ×4, first 2 shown]
	v_fmac_f64_e32 v[50:51], v[22:23], v[18:19]
	v_fmac_f64_e32 v[52:53], v[38:39], v[18:19]
	v_lshlrev_b32_e32 v2, 3, v2
	v_fmac_f64_e32 v[24:25], v[42:43], v[18:19]
	v_fmac_f64_e32 v[28:29], v[46:47], v[18:19]
	;; [unrolled: 1-line block ×3, first 2 shown]
	s_waitcnt lgkmcnt(2)
	v_fmac_f64_e32 v[50:51], v[8:9], v[48:49]
	v_fmac_f64_e32 v[52:53], v[10:11], v[48:49]
	v_lshl_add_u32 v2, v1, 5, v2
	s_waitcnt lgkmcnt(0)
	v_fmac_f64_e32 v[24:25], v[12:13], v[48:49]
	v_fmac_f64_e32 v[28:29], v[14:15], v[48:49]
	v_fmac_f64_e32 v[32:33], v[20:21], v[48:49]
	ds_write2_b64 v2, v[50:51], v[52:53] offset1:20
	ds_write2_b64 v2, v[24:25], v[28:29] offset0:40 offset1:60
	ds_write_b64 v2, v[32:33] offset:640
.LBB0_20:
	s_or_b64 exec, exec, s[2:3]
	s_waitcnt lgkmcnt(0)
	; wave barrier
	s_waitcnt lgkmcnt(0)
	s_and_saveexec_b64 s[2:3], vcc
	s_cbranch_execz .LBB0_23
; %bb.21:
	v_and_b32_e32 v2, 0x3ff, v0
	v_cmp_gt_u32_e64 s[0:1], 4, v2
	s_and_b64 exec, exec, s[0:1]
	s_cbranch_execz .LBB0_23
; %bb.22:
	v_lshlrev_b32_e32 v45, 3, v2
	v_mul_u32_u24_e32 v44, 40, v1
	ds_read2_b64 v[2:5], v45 offset1:4
	ds_read2_b64 v[6:9], v44 offset0:252 offset1:253
	ds_read2_b64 v[10:13], v45 offset0:16 offset1:20
	;; [unrolled: 1-line block ×6, first 2 shown]
	s_waitcnt lgkmcnt(5)
	v_fma_f64 v[34:35], v[2:3], v[6:7], 0
	s_waitcnt lgkmcnt(4)
	v_fma_f64 v[36:37], v[12:13], v[6:7], 0
	;; [unrolled: 2-line block ×3, first 2 shown]
	ds_read2_b64 v[12:15], v45 offset0:24 offset1:28
	s_waitcnt lgkmcnt(2)
	v_fma_f64 v[40:41], v[24:25], v[6:7], 0
	s_waitcnt lgkmcnt(1)
	v_fma_f64 v[42:43], v[26:27], v[6:7], 0
	ds_read2_b64 v[24:27], v45 offset0:64 offset1:68
	v_fmac_f64_e32 v[34:35], v[4:5], v[8:9]
	s_waitcnt lgkmcnt(1)
	v_fmac_f64_e32 v[36:37], v[12:13], v[8:9]
	ds_read2_b64 v[2:5], v45 offset0:8 offset1:12
	v_fmac_f64_e32 v[38:39], v[16:17], v[8:9]
	s_waitcnt lgkmcnt(1)
	v_fmac_f64_e32 v[40:41], v[24:25], v[8:9]
	ds_read2_b64 v[30:33], v45 offset0:48 offset1:52
	v_fmac_f64_e32 v[42:43], v[28:29], v[8:9]
	ds_read2_b64 v[6:9], v45 offset0:88 offset1:92
	s_waitcnt lgkmcnt(2)
	v_fmac_f64_e32 v[34:35], v[2:3], v[18:19]
	v_fmac_f64_e32 v[36:37], v[14:15], v[18:19]
	s_waitcnt lgkmcnt(1)
	v_fmac_f64_e32 v[38:39], v[30:31], v[18:19]
	ds_read2_b64 v[12:15], v45 offset0:32 offset1:36
	v_fmac_f64_e32 v[40:41], v[26:27], v[18:19]
	s_waitcnt lgkmcnt(1)
	v_fmac_f64_e32 v[42:43], v[6:7], v[18:19]
	ds_read2_b64 v[16:19], v45 offset0:72 offset1:76
	v_fmac_f64_e32 v[34:35], v[4:5], v[20:21]
	ds_read_b64 v[2:3], v44 offset:2048
	ds_read_b64 v[4:5], v45 offset:768
	s_waitcnt lgkmcnt(3)
	v_fmac_f64_e32 v[36:37], v[12:13], v[20:21]
	v_fmac_f64_e32 v[38:39], v[32:33], v[20:21]
	s_waitcnt lgkmcnt(2)
	v_fmac_f64_e32 v[40:41], v[16:17], v[20:21]
	v_fmac_f64_e32 v[42:43], v[8:9], v[20:21]
	;; [unrolled: 3-line block ×3, first 2 shown]
	v_fmac_f64_e32 v[38:39], v[22:23], v[2:3]
	v_fmac_f64_e32 v[40:41], v[18:19], v[2:3]
	s_waitcnt lgkmcnt(0)
	v_fmac_f64_e32 v[42:43], v[4:5], v[2:3]
	v_lshl_add_u32 v2, v1, 5, v45
	ds_write2_b64 v2, v[34:35], v[36:37] offset0:126 offset1:142
	ds_write2_b64 v2, v[38:39], v[40:41] offset0:158 offset1:174
	ds_write_b64 v2, v[42:43] offset:1520
.LBB0_23:
	s_or_b64 exec, exec, s[2:3]
	s_waitcnt lgkmcnt(0)
	; wave barrier
	s_waitcnt lgkmcnt(0)
	s_and_saveexec_b64 s[0:1], vcc
	s_cbranch_execz .LBB0_26
; %bb.24:
	v_and_b32_e32 v0, 0x3ff, v0
	v_cmp_gt_u32_e32 vcc, 4, v0
	s_and_b64 exec, exec, vcc
	s_cbranch_execz .LBB0_26
; %bb.25:
	s_lshl_b64 s[0:1], s[6:7], 6
	v_lshlrev_b32_e32 v2, 2, v1
	v_or3_b32 v2, s0, v2, v0
	v_mov_b32_e32 v3, s1
	v_lshlrev_b64 v[2:3], 3, v[2:3]
	v_mov_b32_e32 v4, s17
	v_add_co_u32_e32 v44, vcc, s16, v2
	v_addc_co_u32_e32 v45, vcc, v4, v3, vcc
	global_load_dwordx2 v[46:47], v[44:45], off
	global_load_dwordx2 v[48:49], v[44:45], off offset:128
	global_load_dwordx2 v[50:51], v[44:45], off offset:256
	;; [unrolled: 1-line block ×3, first 2 shown]
	v_lshlrev_b32_e32 v0, 3, v0
	v_mov_b32_e32 v40, 0
	v_lshl_add_u32 v58, v1, 5, v0
	ds_read_b128 v[0:3], v40 offset:2016
	ds_read_b128 v[4:7], v40 offset:2032
	;; [unrolled: 1-line block ×7, first 2 shown]
	ds_read2_b64 v[28:31], v58 offset0:126 offset1:142
	ds_read_b128 v[32:35], v40 offset:2064
	ds_read_b128 v[36:39], v40 offset:2080
	;; [unrolled: 1-line block ×3, first 2 shown]
	ds_read_b64 v[54:55], v58 offset:1520
	s_waitcnt lgkmcnt(4)
	v_fma_f64 v[56:57], v[28:29], v[0:1], 0
	v_fmac_f64_e32 v[56:57], v[30:31], v[2:3]
	ds_read2_b64 v[0:3], v58 offset0:158 offset1:174
	v_fma_f64 v[20:21], v[28:29], v[20:21], 0
	v_fma_f64 v[10:11], v[28:29], v[10:11], 0
	;; [unrolled: 1-line block ×3, first 2 shown]
	v_fmac_f64_e32 v[20:21], v[30:31], v[22:23]
	s_waitcnt lgkmcnt(4)
	v_fmac_f64_e32 v[10:11], v[30:31], v[32:33]
	v_fmac_f64_e32 v[14:15], v[30:31], v[16:17]
	s_waitcnt lgkmcnt(0)
	v_fmac_f64_e32 v[56:57], v[0:1], v[4:5]
	v_fmac_f64_e32 v[10:11], v[0:1], v[34:35]
	;; [unrolled: 1-line block ×12, first 2 shown]
	s_waitcnt vmcnt(3)
	v_add_f64 v[0:1], v[56:57], v[46:47]
	s_waitcnt vmcnt(2)
	v_add_f64 v[2:3], v[10:11], v[48:49]
	;; [unrolled: 2-line block ×4, first 2 shown]
	global_store_dwordx2 v[44:45], v[0:1], off
	global_store_dwordx2 v[44:45], v[2:3], off offset:128
	global_store_dwordx2 v[44:45], v[4:5], off offset:256
	;; [unrolled: 1-line block ×3, first 2 shown]
.LBB0_26:
	s_endpgm
	.section	.rodata,"a",@progbits
	.p2align	6, 0x0
	.amdhsa_kernel _ZN8rajaperf4apps8Mass3DPAILm25EEEvPdS2_S2_S2_S2_
		.amdhsa_group_segment_fixed_size 2176
		.amdhsa_private_segment_fixed_size 0
		.amdhsa_kernarg_size 40
		.amdhsa_user_sgpr_count 6
		.amdhsa_user_sgpr_private_segment_buffer 1
		.amdhsa_user_sgpr_dispatch_ptr 0
		.amdhsa_user_sgpr_queue_ptr 0
		.amdhsa_user_sgpr_kernarg_segment_ptr 1
		.amdhsa_user_sgpr_dispatch_id 0
		.amdhsa_user_sgpr_flat_scratch_init 0
		.amdhsa_user_sgpr_kernarg_preload_length 0
		.amdhsa_user_sgpr_kernarg_preload_offset 0
		.amdhsa_user_sgpr_private_segment_size 0
		.amdhsa_uses_dynamic_stack 0
		.amdhsa_system_sgpr_private_segment_wavefront_offset 0
		.amdhsa_system_sgpr_workgroup_id_x 1
		.amdhsa_system_sgpr_workgroup_id_y 0
		.amdhsa_system_sgpr_workgroup_id_z 0
		.amdhsa_system_sgpr_workgroup_info 0
		.amdhsa_system_vgpr_workitem_id 1
		.amdhsa_next_free_vgpr 59
		.amdhsa_next_free_sgpr 18
		.amdhsa_accum_offset 60
		.amdhsa_reserve_vcc 1
		.amdhsa_reserve_flat_scratch 0
		.amdhsa_float_round_mode_32 0
		.amdhsa_float_round_mode_16_64 0
		.amdhsa_float_denorm_mode_32 3
		.amdhsa_float_denorm_mode_16_64 3
		.amdhsa_dx10_clamp 1
		.amdhsa_ieee_mode 1
		.amdhsa_fp16_overflow 0
		.amdhsa_tg_split 0
		.amdhsa_exception_fp_ieee_invalid_op 0
		.amdhsa_exception_fp_denorm_src 0
		.amdhsa_exception_fp_ieee_div_zero 0
		.amdhsa_exception_fp_ieee_overflow 0
		.amdhsa_exception_fp_ieee_underflow 0
		.amdhsa_exception_fp_ieee_inexact 0
		.amdhsa_exception_int_div_zero 0
	.end_amdhsa_kernel
	.section	.text._ZN8rajaperf4apps8Mass3DPAILm25EEEvPdS2_S2_S2_S2_,"axG",@progbits,_ZN8rajaperf4apps8Mass3DPAILm25EEEvPdS2_S2_S2_S2_,comdat
.Lfunc_end0:
	.size	_ZN8rajaperf4apps8Mass3DPAILm25EEEvPdS2_S2_S2_S2_, .Lfunc_end0-_ZN8rajaperf4apps8Mass3DPAILm25EEEvPdS2_S2_S2_S2_
                                        ; -- End function
	.section	.AMDGPU.csdata,"",@progbits
; Kernel info:
; codeLenInByte = 2572
; NumSgprs: 22
; NumVgprs: 59
; NumAgprs: 0
; TotalNumVgprs: 59
; ScratchSize: 0
; MemoryBound: 0
; FloatMode: 240
; IeeeMode: 1
; LDSByteSize: 2176 bytes/workgroup (compile time only)
; SGPRBlocks: 2
; VGPRBlocks: 7
; NumSGPRsForWavesPerEU: 22
; NumVGPRsForWavesPerEU: 59
; AccumOffset: 60
; Occupancy: 8
; WaveLimiterHint : 1
; COMPUTE_PGM_RSRC2:SCRATCH_EN: 0
; COMPUTE_PGM_RSRC2:USER_SGPR: 6
; COMPUTE_PGM_RSRC2:TRAP_HANDLER: 0
; COMPUTE_PGM_RSRC2:TGID_X_EN: 1
; COMPUTE_PGM_RSRC2:TGID_Y_EN: 0
; COMPUTE_PGM_RSRC2:TGID_Z_EN: 0
; COMPUTE_PGM_RSRC2:TIDIG_COMP_CNT: 1
; COMPUTE_PGM_RSRC3_GFX90A:ACCUM_OFFSET: 14
; COMPUTE_PGM_RSRC3_GFX90A:TG_SPLIT: 0
	.section	.text._ZN4RAJA34launch_new_reduce_global_fcn_fixedIZN8rajaperf4apps8MASS3DPA17runHipVariantImplILm25EEEvNS1_9VariantIDEEUlNS_14LaunchContextTINS_3hip33LaunchContextIndicesAndDimsPolicyINS7_14IndicesAndDimsILb0ELb0ELb0ELb0EEEEEEEE_Li25ENS_4expt15ForallParamPackIJEEEEEvT_T1_,"axG",@progbits,_ZN4RAJA34launch_new_reduce_global_fcn_fixedIZN8rajaperf4apps8MASS3DPA17runHipVariantImplILm25EEEvNS1_9VariantIDEEUlNS_14LaunchContextTINS_3hip33LaunchContextIndicesAndDimsPolicyINS7_14IndicesAndDimsILb0ELb0ELb0ELb0EEEEEEEE_Li25ENS_4expt15ForallParamPackIJEEEEEvT_T1_,comdat
	.protected	_ZN4RAJA34launch_new_reduce_global_fcn_fixedIZN8rajaperf4apps8MASS3DPA17runHipVariantImplILm25EEEvNS1_9VariantIDEEUlNS_14LaunchContextTINS_3hip33LaunchContextIndicesAndDimsPolicyINS7_14IndicesAndDimsILb0ELb0ELb0ELb0EEEEEEEE_Li25ENS_4expt15ForallParamPackIJEEEEEvT_T1_ ; -- Begin function _ZN4RAJA34launch_new_reduce_global_fcn_fixedIZN8rajaperf4apps8MASS3DPA17runHipVariantImplILm25EEEvNS1_9VariantIDEEUlNS_14LaunchContextTINS_3hip33LaunchContextIndicesAndDimsPolicyINS7_14IndicesAndDimsILb0ELb0ELb0ELb0EEEEEEEE_Li25ENS_4expt15ForallParamPackIJEEEEEvT_T1_
	.globl	_ZN4RAJA34launch_new_reduce_global_fcn_fixedIZN8rajaperf4apps8MASS3DPA17runHipVariantImplILm25EEEvNS1_9VariantIDEEUlNS_14LaunchContextTINS_3hip33LaunchContextIndicesAndDimsPolicyINS7_14IndicesAndDimsILb0ELb0ELb0ELb0EEEEEEEE_Li25ENS_4expt15ForallParamPackIJEEEEEvT_T1_
	.p2align	8
	.type	_ZN4RAJA34launch_new_reduce_global_fcn_fixedIZN8rajaperf4apps8MASS3DPA17runHipVariantImplILm25EEEvNS1_9VariantIDEEUlNS_14LaunchContextTINS_3hip33LaunchContextIndicesAndDimsPolicyINS7_14IndicesAndDimsILb0ELb0ELb0ELb0EEEEEEEE_Li25ENS_4expt15ForallParamPackIJEEEEEvT_T1_,@function
_ZN4RAJA34launch_new_reduce_global_fcn_fixedIZN8rajaperf4apps8MASS3DPA17runHipVariantImplILm25EEEvNS1_9VariantIDEEUlNS_14LaunchContextTINS_3hip33LaunchContextIndicesAndDimsPolicyINS7_14IndicesAndDimsILb0ELb0ELb0ELb0EEEEEEEE_Li25ENS_4expt15ForallParamPackIJEEEEEvT_T1_: ; @_ZN4RAJA34launch_new_reduce_global_fcn_fixedIZN8rajaperf4apps8MASS3DPA17runHipVariantImplILm25EEEvNS1_9VariantIDEEUlNS_14LaunchContextTINS_3hip33LaunchContextIndicesAndDimsPolicyINS7_14IndicesAndDimsILb0ELb0ELb0ELb0EEEEEEEE_Li25ENS_4expt15ForallParamPackIJEEEEEvT_T1_
; %bb.0:
	s_load_dwordx8 s[8:15], s[4:5], 0x0
	s_mov_b32 s7, 0
	v_pk_mov_b32 v[2:3], s[6:7], s[6:7] op_sel:[0,1]
	s_waitcnt lgkmcnt(0)
	v_cmp_le_i64_e32 vcc, s[8:9], v[2:3]
	s_cbranch_vccnz .LBB1_27
; %bb.1:
	s_load_dwordx4 s[16:19], s[4:5], 0x20
	v_bfe_u32 v1, v0, 10, 10
	v_cmp_gt_u32_e32 vcc, 4, v1
	s_and_saveexec_b64 s[2:3], vcc
	s_cbranch_execz .LBB1_6
; %bb.2:
	v_and_b32_e32 v2, 0x3ff, v0
	v_cmp_gt_u32_e64 s[0:1], 4, v2
	v_lshlrev_b32_e32 v3, 3, v2
	s_and_saveexec_b64 s[4:5], s[0:1]
	s_cbranch_execz .LBB1_4
; %bb.3:
	s_lshl_b64 s[0:1], s[6:7], 9
	s_add_u32 s0, s0, s10
	v_lshlrev_b32_e32 v14, 5, v1
	s_addc_u32 s1, s1, s11
	v_mov_b32_e32 v4, s1
	v_add_co_u32_e64 v5, s[0:1], s0, v14
	v_addc_co_u32_e64 v6, s[0:1], 0, v4, s[0:1]
	v_add_co_u32_e64 v4, s[0:1], v5, v3
	v_addc_co_u32_e64 v5, s[0:1], 0, v6, s[0:1]
	global_load_dwordx2 v[6:7], v[4:5], off
	global_load_dwordx2 v[8:9], v[4:5], off offset:128
	global_load_dwordx2 v[10:11], v[4:5], off offset:256
	;; [unrolled: 1-line block ×3, first 2 shown]
	v_add_u32_e32 v4, v14, v3
	s_waitcnt vmcnt(2)
	ds_write2_b64 v4, v[6:7], v[8:9] offset1:16
	s_waitcnt vmcnt(0)
	ds_write2_b64 v4, v[10:11], v[12:13] offset0:32 offset1:48
.LBB1_4:
	s_or_b64 exec, exec, s[4:5]
	v_cmp_gt_u32_e64 s[0:1], 5, v2
	s_and_b64 exec, exec, s[0:1]
	s_cbranch_execz .LBB1_6
; %bb.5:
	v_mov_b32_e32 v4, s12
	v_mov_b32_e32 v5, s13
	v_mad_u64_u32 v[4:5], s[0:1], v1, 40, v[4:5]
	v_add_co_u32_e64 v4, s[0:1], v4, v3
	v_addc_co_u32_e64 v5, s[0:1], 0, v5, s[0:1]
	global_load_dwordx2 v[4:5], v[4:5], off
	v_lshlrev_b32_e32 v3, 3, v1
	v_lshl_add_u32 v2, v2, 5, v3
	s_waitcnt vmcnt(0)
	ds_write_b64 v2, v[4:5] offset:2016
.LBB1_6:
	s_or_b64 exec, exec, s[2:3]
	s_waitcnt lgkmcnt(0)
	; wave barrier
	s_waitcnt lgkmcnt(0)
	s_and_saveexec_b64 s[2:3], vcc
	s_cbranch_execz .LBB1_9
; %bb.7:
	v_and_b32_e32 v2, 0x3ff, v0
	v_cmp_gt_u32_e64 s[0:1], 5, v2
	s_and_b64 exec, exec, s[0:1]
	s_cbranch_execz .LBB1_9
; %bb.8:
	v_lshlrev_b32_e32 v3, 5, v1
	v_lshlrev_b32_e32 v12, 5, v2
	ds_read_b128 v[4:7], v3
	ds_read_b128 v[8:11], v12 offset:2016
	ds_read_b128 v[12:15], v12 offset:2032
	;; [unrolled: 1-line block ×9, first 2 shown]
	s_waitcnt lgkmcnt(8)
	v_fma_f64 v[4:5], v[8:9], v[4:5], 0
	s_waitcnt lgkmcnt(5)
	v_fma_f64 v[20:21], v[8:9], v[20:21], 0
	;; [unrolled: 2-line block ×4, first 2 shown]
	v_fmac_f64_e32 v[4:5], v[10:11], v[6:7]
	v_fmac_f64_e32 v[20:21], v[10:11], v[22:23]
	;; [unrolled: 1-line block ×5, first 2 shown]
	s_waitcnt lgkmcnt(2)
	v_fmac_f64_e32 v[20:21], v[12:13], v[32:33]
	v_lshlrev_b32_e32 v2, 3, v2
	s_waitcnt lgkmcnt(1)
	v_fmac_f64_e32 v[24:25], v[12:13], v[36:37]
	s_waitcnt lgkmcnt(0)
	v_fmac_f64_e32 v[8:9], v[12:13], v[40:41]
	v_fmac_f64_e32 v[4:5], v[14:15], v[18:19]
	;; [unrolled: 1-line block ×3, first 2 shown]
	v_mad_u32_u24 v2, v1, 40, v2
	v_fmac_f64_e32 v[24:25], v[14:15], v[38:39]
	v_fmac_f64_e32 v[8:9], v[14:15], v[42:43]
	ds_write2_b64 v2, v[4:5], v[20:21] offset0:126 offset1:146
	ds_write2_b64 v2, v[24:25], v[8:9] offset0:166 offset1:186
.LBB1_9:
	s_or_b64 exec, exec, s[2:3]
	v_cmp_gt_u32_e64 s[0:1], 5, v1
	s_waitcnt lgkmcnt(0)
	; wave barrier
	s_waitcnt lgkmcnt(0)
	s_and_saveexec_b64 s[4:5], s[0:1]
	s_cbranch_execz .LBB1_12
; %bb.10:
	v_and_b32_e32 v2, 0x3ff, v0
	v_cmp_gt_u32_e64 s[2:3], 5, v2
	s_and_b64 exec, exec, s[2:3]
	s_cbranch_execz .LBB1_12
; %bb.11:
	v_lshlrev_b32_e32 v22, 5, v1
	v_lshlrev_b32_e32 v36, 3, v2
	ds_read2_b64 v[2:5], v36 offset0:126 offset1:131
	ds_read_b128 v[6:9], v22 offset:2016
	ds_read2_b64 v[10:13], v36 offset0:146 offset1:151
	ds_read2_b64 v[14:17], v36 offset0:166 offset1:171
	;; [unrolled: 1-line block ×3, first 2 shown]
	ds_read_b128 v[22:25], v22 offset:2032
	s_waitcnt lgkmcnt(4)
	v_fma_f64 v[30:31], v[6:7], v[2:3], 0
	s_waitcnt lgkmcnt(3)
	v_fma_f64 v[32:33], v[6:7], v[10:11], 0
	;; [unrolled: 2-line block ×3, first 2 shown]
	v_fmac_f64_e32 v[30:31], v[8:9], v[4:5]
	v_fmac_f64_e32 v[32:33], v[8:9], v[12:13]
	;; [unrolled: 1-line block ×3, first 2 shown]
	ds_read2_b64 v[2:5], v36 offset0:136 offset1:141
	ds_read2_b64 v[10:13], v36 offset0:156 offset1:161
	;; [unrolled: 1-line block ×4, first 2 shown]
	s_waitcnt lgkmcnt(5)
	v_fma_f64 v[6:7], v[6:7], v[18:19], 0
	v_fmac_f64_e32 v[6:7], v[8:9], v[20:21]
	s_waitcnt lgkmcnt(3)
	v_fmac_f64_e32 v[30:31], v[22:23], v[2:3]
	s_waitcnt lgkmcnt(2)
	;; [unrolled: 2-line block ×4, first 2 shown]
	v_fmac_f64_e32 v[6:7], v[22:23], v[26:27]
	v_fmac_f64_e32 v[30:31], v[24:25], v[4:5]
	;; [unrolled: 1-line block ×3, first 2 shown]
	v_mad_u32_u24 v2, v1, 40, v36
	v_fmac_f64_e32 v[34:35], v[24:25], v[16:17]
	v_fmac_f64_e32 v[6:7], v[24:25], v[28:29]
	ds_write2_b64 v2, v[30:31], v[32:33] offset1:25
	ds_write2_b64 v2, v[34:35], v[6:7] offset0:50 offset1:75
.LBB1_12:
	s_or_b64 exec, exec, s[4:5]
	s_waitcnt lgkmcnt(0)
	; wave barrier
	s_waitcnt lgkmcnt(0)
	s_and_saveexec_b64 s[4:5], s[0:1]
	s_cbranch_execz .LBB1_15
; %bb.13:
	v_and_b32_e32 v2, 0x3ff, v0
	v_cmp_gt_u32_e64 s[2:3], 5, v2
	s_and_b64 exec, exec, s[2:3]
	s_cbranch_execz .LBB1_15
; %bb.14:
	v_mov_b32_e32 v4, s14
	v_mov_b32_e32 v5, s15
	v_mad_u64_u32 v[4:5], s[2:3], v1, 40, v[4:5]
	v_mov_b32_e32 v3, 0x3e8
	v_mad_u64_u32 v[4:5], s[2:3], s6, v3, v[4:5]
	v_lshlrev_b32_e32 v6, 3, v2
	v_add_co_u32_e64 v2, s[2:3], v4, v6
	v_addc_co_u32_e64 v3, s[2:3], 0, v5, s[2:3]
	global_load_dwordx2 v[46:47], v[2:3], off
	global_load_dwordx2 v[48:49], v[2:3], off offset:200
	global_load_dwordx2 v[50:51], v[2:3], off offset:400
	;; [unrolled: 1-line block ×4, first 2 shown]
	v_mov_b32_e32 v42, 0
	v_mad_u32_u24 v58, v1, 40, v6
	ds_read_b128 v[2:5], v42 offset:2016
	ds_read_b128 v[6:9], v42 offset:2032
	;; [unrolled: 1-line block ×6, first 2 shown]
	ds_read2_b64 v[26:29], v58 offset1:25
	ds_read_b128 v[30:33], v42 offset:2112
	ds_read_b128 v[34:37], v42 offset:2128
	;; [unrolled: 1-line block ×4, first 2 shown]
	s_waitcnt lgkmcnt(4)
	v_fma_f64 v[56:57], v[26:27], v[2:3], 0
	v_fmac_f64_e32 v[56:57], v[28:29], v[4:5]
	ds_read2_b64 v[2:5], v58 offset0:50 offset1:75
	v_fma_f64 v[10:11], v[26:27], v[10:11], 0
	v_fmac_f64_e32 v[10:11], v[28:29], v[12:13]
	v_fma_f64 v[12:13], v[26:27], v[18:19], 0
	s_waitcnt lgkmcnt(4)
	v_fma_f64 v[18:19], v[26:27], v[30:31], 0
	v_fmac_f64_e32 v[12:13], v[28:29], v[20:21]
	s_waitcnt lgkmcnt(2)
	v_fma_f64 v[20:21], v[26:27], v[38:39], 0
	v_fmac_f64_e32 v[18:19], v[28:29], v[32:33]
	v_fmac_f64_e32 v[20:21], v[28:29], v[40:41]
	s_waitcnt lgkmcnt(0)
	v_fmac_f64_e32 v[56:57], v[2:3], v[6:7]
	v_fmac_f64_e32 v[10:11], v[2:3], v[14:15]
	;; [unrolled: 1-line block ×10, first 2 shown]
	s_waitcnt vmcnt(4)
	v_mul_f64 v[2:3], v[56:57], v[46:47]
	s_waitcnt vmcnt(3)
	v_mul_f64 v[4:5], v[10:11], v[48:49]
	;; [unrolled: 2-line block ×5, first 2 shown]
	ds_write2_b64 v58, v[2:3], v[4:5] offset0:126 offset1:151
	ds_write2_b64 v58, v[6:7], v[8:9] offset0:176 offset1:201
	ds_write_b64 v58, v[10:11] offset:1808
.LBB1_15:
	s_or_b64 exec, exec, s[4:5]
	s_waitcnt lgkmcnt(0)
	; wave barrier
	s_waitcnt lgkmcnt(0)
	s_and_saveexec_b64 s[4:5], vcc
	s_cbranch_execz .LBB1_18
; %bb.16:
	v_and_b32_e32 v2, 0x3ff, v0
	v_cmp_gt_u32_e64 s[2:3], 5, v2
	s_and_b64 exec, exec, s[2:3]
	s_cbranch_execz .LBB1_18
; %bb.17:
	v_lshlrev_b32_e32 v4, 3, v2
	v_lshlrev_b32_e32 v2, 5, v1
	v_mov_b32_e32 v3, s17
	v_add_co_u32_e64 v2, s[2:3], s16, v2
	v_addc_co_u32_e64 v3, s[2:3], 0, v3, s[2:3]
	v_add_co_u32_e64 v2, s[2:3], v2, v4
	v_addc_co_u32_e64 v3, s[2:3], 0, v3, s[2:3]
	global_load_dwordx2 v[2:3], v[2:3], off
	v_mad_u32_u24 v4, v1, 40, v4
	s_waitcnt vmcnt(0)
	ds_write_b64 v4, v[2:3] offset:2016
.LBB1_18:
	s_or_b64 exec, exec, s[4:5]
	s_waitcnt lgkmcnt(0)
	; wave barrier
	s_waitcnt lgkmcnt(0)
	s_and_saveexec_b64 s[2:3], s[0:1]
	s_cbranch_execz .LBB1_21
; %bb.19:
	v_and_b32_e32 v2, 0x3ff, v0
	v_cmp_gt_u32_e64 s[0:1], 4, v2
	s_and_b64 exec, exec, s[0:1]
	s_cbranch_execz .LBB1_21
; %bb.20:
	v_mul_u32_u24_e32 v3, 40, v1
	v_mul_u32_u24_e32 v54, 40, v2
	ds_read2_b64 v[4:7], v54 offset0:252 offset1:253
	ds_read2_b64 v[8:11], v3 offset0:126 offset1:127
	;; [unrolled: 1-line block ×4, first 2 shown]
	ds_read_b64 v[48:49], v3 offset:1840
	ds_read2_b64 v[20:23], v3 offset0:153 offset1:154
	ds_read2_b64 v[24:27], v3 offset0:176 offset1:177
	;; [unrolled: 1-line block ×5, first 2 shown]
	s_waitcnt lgkmcnt(8)
	v_fma_f64 v[50:51], v[4:5], v[8:9], 0
	v_fmac_f64_e32 v[50:51], v[6:7], v[10:11]
	ds_read2_b64 v[8:11], v54 offset0:254 offset1:255
	s_waitcnt lgkmcnt(8)
	v_fma_f64 v[52:53], v[4:5], v[12:13], 0
	s_waitcnt lgkmcnt(4)
	v_fma_f64 v[24:25], v[4:5], v[24:25], 0
	ds_read2_b64 v[40:43], v3 offset0:203 offset1:204
	ds_read2_b64 v[44:47], v3 offset0:228 offset1:229
	s_waitcnt lgkmcnt(5)
	v_fma_f64 v[28:29], v[4:5], v[28:29], 0
	s_waitcnt lgkmcnt(4)
	v_fma_f64 v[32:33], v[4:5], v[32:33], 0
	v_fmac_f64_e32 v[52:53], v[6:7], v[14:15]
	v_fmac_f64_e32 v[24:25], v[6:7], v[26:27]
	;; [unrolled: 1-line block ×4, first 2 shown]
	ds_read_b64 v[26:27], v54 offset:2048
	ds_read2_b64 v[4:7], v3 offset0:130 offset1:155
	ds_read2_b64 v[12:15], v3 offset0:180 offset1:205
	s_waitcnt lgkmcnt(5)
	v_fmac_f64_e32 v[50:51], v[8:9], v[16:17]
	v_fmac_f64_e32 v[52:53], v[8:9], v[20:21]
	;; [unrolled: 1-line block ×3, first 2 shown]
	s_waitcnt lgkmcnt(4)
	v_fmac_f64_e32 v[28:29], v[8:9], v[40:41]
	s_waitcnt lgkmcnt(3)
	v_fmac_f64_e32 v[32:33], v[8:9], v[44:45]
	v_fmac_f64_e32 v[50:51], v[10:11], v[18:19]
	;; [unrolled: 1-line block ×3, first 2 shown]
	v_lshlrev_b32_e32 v2, 3, v2
	v_fmac_f64_e32 v[24:25], v[10:11], v[38:39]
	v_fmac_f64_e32 v[28:29], v[10:11], v[42:43]
	;; [unrolled: 1-line block ×3, first 2 shown]
	s_waitcnt lgkmcnt(1)
	v_fmac_f64_e32 v[50:51], v[26:27], v[4:5]
	v_fmac_f64_e32 v[52:53], v[26:27], v[6:7]
	v_lshl_add_u32 v2, v1, 5, v2
	s_waitcnt lgkmcnt(0)
	v_fmac_f64_e32 v[24:25], v[26:27], v[12:13]
	v_fmac_f64_e32 v[28:29], v[26:27], v[14:15]
	;; [unrolled: 1-line block ×3, first 2 shown]
	ds_write2_b64 v2, v[50:51], v[52:53] offset1:20
	ds_write2_b64 v2, v[24:25], v[28:29] offset0:40 offset1:60
	ds_write_b64 v2, v[32:33] offset:640
.LBB1_21:
	s_or_b64 exec, exec, s[2:3]
	s_waitcnt lgkmcnt(0)
	; wave barrier
	s_waitcnt lgkmcnt(0)
	s_and_saveexec_b64 s[2:3], vcc
	s_cbranch_execz .LBB1_24
; %bb.22:
	v_and_b32_e32 v2, 0x3ff, v0
	v_cmp_gt_u32_e64 s[0:1], 4, v2
	s_and_b64 exec, exec, s[0:1]
	s_cbranch_execz .LBB1_24
; %bb.23:
	v_lshlrev_b32_e32 v45, 3, v2
	v_mul_u32_u24_e32 v44, 40, v1
	ds_read2_b64 v[2:5], v45 offset1:4
	ds_read2_b64 v[6:9], v44 offset0:252 offset1:253
	ds_read2_b64 v[10:13], v45 offset0:16 offset1:20
	;; [unrolled: 1-line block ×6, first 2 shown]
	s_waitcnt lgkmcnt(5)
	v_fma_f64 v[34:35], v[6:7], v[2:3], 0
	s_waitcnt lgkmcnt(4)
	v_fma_f64 v[36:37], v[6:7], v[12:13], 0
	;; [unrolled: 2-line block ×3, first 2 shown]
	ds_read2_b64 v[12:15], v45 offset0:24 offset1:28
	s_waitcnt lgkmcnt(2)
	v_fma_f64 v[40:41], v[6:7], v[24:25], 0
	s_waitcnt lgkmcnt(1)
	v_fma_f64 v[42:43], v[6:7], v[26:27], 0
	ds_read2_b64 v[24:27], v45 offset0:64 offset1:68
	v_fmac_f64_e32 v[34:35], v[8:9], v[4:5]
	s_waitcnt lgkmcnt(1)
	v_fmac_f64_e32 v[36:37], v[8:9], v[12:13]
	ds_read2_b64 v[2:5], v45 offset0:8 offset1:12
	v_fmac_f64_e32 v[38:39], v[8:9], v[16:17]
	s_waitcnt lgkmcnt(1)
	v_fmac_f64_e32 v[40:41], v[8:9], v[24:25]
	ds_read2_b64 v[30:33], v45 offset0:48 offset1:52
	v_fmac_f64_e32 v[42:43], v[8:9], v[28:29]
	ds_read2_b64 v[6:9], v45 offset0:88 offset1:92
	s_waitcnt lgkmcnt(2)
	v_fmac_f64_e32 v[34:35], v[18:19], v[2:3]
	v_fmac_f64_e32 v[36:37], v[18:19], v[14:15]
	s_waitcnt lgkmcnt(1)
	v_fmac_f64_e32 v[38:39], v[18:19], v[30:31]
	ds_read2_b64 v[12:15], v45 offset0:32 offset1:36
	v_fmac_f64_e32 v[40:41], v[18:19], v[26:27]
	s_waitcnt lgkmcnt(1)
	v_fmac_f64_e32 v[42:43], v[18:19], v[6:7]
	ds_read2_b64 v[16:19], v45 offset0:72 offset1:76
	v_fmac_f64_e32 v[34:35], v[20:21], v[4:5]
	ds_read_b64 v[2:3], v44 offset:2048
	ds_read_b64 v[4:5], v45 offset:768
	s_waitcnt lgkmcnt(3)
	v_fmac_f64_e32 v[36:37], v[20:21], v[12:13]
	v_fmac_f64_e32 v[38:39], v[20:21], v[32:33]
	s_waitcnt lgkmcnt(2)
	v_fmac_f64_e32 v[40:41], v[20:21], v[16:17]
	v_fmac_f64_e32 v[42:43], v[20:21], v[8:9]
	;; [unrolled: 3-line block ×3, first 2 shown]
	v_fmac_f64_e32 v[38:39], v[2:3], v[22:23]
	v_fmac_f64_e32 v[40:41], v[2:3], v[18:19]
	s_waitcnt lgkmcnt(0)
	v_fmac_f64_e32 v[42:43], v[2:3], v[4:5]
	v_lshl_add_u32 v2, v1, 5, v45
	ds_write2_b64 v2, v[34:35], v[36:37] offset0:126 offset1:142
	ds_write2_b64 v2, v[38:39], v[40:41] offset0:158 offset1:174
	ds_write_b64 v2, v[42:43] offset:1520
.LBB1_24:
	s_or_b64 exec, exec, s[2:3]
	s_waitcnt lgkmcnt(0)
	; wave barrier
	s_waitcnt lgkmcnt(0)
	s_and_saveexec_b64 s[0:1], vcc
	s_cbranch_execz .LBB1_27
; %bb.25:
	v_and_b32_e32 v0, 0x3ff, v0
	v_cmp_gt_u32_e32 vcc, 4, v0
	s_and_b64 exec, exec, vcc
	s_cbranch_execz .LBB1_27
; %bb.26:
	s_lshl_b64 s[0:1], s[6:7], 9
	s_add_u32 s0, s0, s18
	v_lshlrev_b32_e32 v1, 5, v1
	s_addc_u32 s1, s1, s19
	v_mov_b32_e32 v2, s1
	v_add_co_u32_e32 v3, vcc, s0, v1
	v_addc_co_u32_e32 v2, vcc, 0, v2, vcc
	v_lshlrev_b32_e32 v0, 3, v0
	v_add_co_u32_e32 v44, vcc, v3, v0
	v_addc_co_u32_e32 v45, vcc, 0, v2, vcc
	global_load_dwordx2 v[46:47], v[44:45], off
	global_load_dwordx2 v[48:49], v[44:45], off offset:128
	global_load_dwordx2 v[50:51], v[44:45], off offset:256
	global_load_dwordx2 v[52:53], v[44:45], off offset:384
	v_mov_b32_e32 v40, 0
	v_add_u32_e32 v58, v1, v0
	ds_read_b128 v[0:3], v40 offset:2016
	ds_read_b128 v[4:7], v40 offset:2032
	ds_read_b128 v[8:11], v40 offset:2048
	ds_read_b128 v[12:15], v40 offset:2128
	ds_read_b128 v[16:19], v40 offset:2144
	ds_read_b128 v[20:23], v40 offset:2096
	ds_read_b128 v[24:27], v40 offset:2112
	ds_read2_b64 v[28:31], v58 offset0:126 offset1:142
	ds_read_b128 v[32:35], v40 offset:2064
	ds_read_b128 v[36:39], v40 offset:2080
	ds_read_b128 v[40:43], v40 offset:2160
	ds_read_b64 v[54:55], v58 offset:1520
	s_waitcnt lgkmcnt(4)
	v_fma_f64 v[56:57], v[28:29], v[0:1], 0
	v_fmac_f64_e32 v[56:57], v[30:31], v[2:3]
	ds_read2_b64 v[0:3], v58 offset0:158 offset1:174
	v_fma_f64 v[20:21], v[28:29], v[20:21], 0
	v_fma_f64 v[10:11], v[28:29], v[10:11], 0
	;; [unrolled: 1-line block ×3, first 2 shown]
	v_fmac_f64_e32 v[20:21], v[30:31], v[22:23]
	s_waitcnt lgkmcnt(4)
	v_fmac_f64_e32 v[10:11], v[30:31], v[32:33]
	v_fmac_f64_e32 v[14:15], v[30:31], v[16:17]
	s_waitcnt lgkmcnt(0)
	v_fmac_f64_e32 v[56:57], v[0:1], v[4:5]
	v_fmac_f64_e32 v[10:11], v[0:1], v[34:35]
	;; [unrolled: 1-line block ×12, first 2 shown]
	s_waitcnt vmcnt(3)
	v_add_f64 v[0:1], v[56:57], v[46:47]
	s_waitcnt vmcnt(2)
	v_add_f64 v[2:3], v[10:11], v[48:49]
	;; [unrolled: 2-line block ×4, first 2 shown]
	global_store_dwordx2 v[44:45], v[0:1], off
	global_store_dwordx2 v[44:45], v[2:3], off offset:128
	global_store_dwordx2 v[44:45], v[4:5], off offset:256
	global_store_dwordx2 v[44:45], v[6:7], off offset:384
.LBB1_27:
	s_endpgm
	.section	.rodata,"a",@progbits
	.p2align	6, 0x0
	.amdhsa_kernel _ZN4RAJA34launch_new_reduce_global_fcn_fixedIZN8rajaperf4apps8MASS3DPA17runHipVariantImplILm25EEEvNS1_9VariantIDEEUlNS_14LaunchContextTINS_3hip33LaunchContextIndicesAndDimsPolicyINS7_14IndicesAndDimsILb0ELb0ELb0ELb0EEEEEEEE_Li25ENS_4expt15ForallParamPackIJEEEEEvT_T1_
		.amdhsa_group_segment_fixed_size 2176
		.amdhsa_private_segment_fixed_size 0
		.amdhsa_kernarg_size 52
		.amdhsa_user_sgpr_count 6
		.amdhsa_user_sgpr_private_segment_buffer 1
		.amdhsa_user_sgpr_dispatch_ptr 0
		.amdhsa_user_sgpr_queue_ptr 0
		.amdhsa_user_sgpr_kernarg_segment_ptr 1
		.amdhsa_user_sgpr_dispatch_id 0
		.amdhsa_user_sgpr_flat_scratch_init 0
		.amdhsa_user_sgpr_kernarg_preload_length 0
		.amdhsa_user_sgpr_kernarg_preload_offset 0
		.amdhsa_user_sgpr_private_segment_size 0
		.amdhsa_uses_dynamic_stack 0
		.amdhsa_system_sgpr_private_segment_wavefront_offset 0
		.amdhsa_system_sgpr_workgroup_id_x 1
		.amdhsa_system_sgpr_workgroup_id_y 0
		.amdhsa_system_sgpr_workgroup_id_z 0
		.amdhsa_system_sgpr_workgroup_info 0
		.amdhsa_system_vgpr_workitem_id 1
		.amdhsa_next_free_vgpr 59
		.amdhsa_next_free_sgpr 20
		.amdhsa_accum_offset 60
		.amdhsa_reserve_vcc 1
		.amdhsa_reserve_flat_scratch 0
		.amdhsa_float_round_mode_32 0
		.amdhsa_float_round_mode_16_64 0
		.amdhsa_float_denorm_mode_32 3
		.amdhsa_float_denorm_mode_16_64 3
		.amdhsa_dx10_clamp 1
		.amdhsa_ieee_mode 1
		.amdhsa_fp16_overflow 0
		.amdhsa_tg_split 0
		.amdhsa_exception_fp_ieee_invalid_op 0
		.amdhsa_exception_fp_denorm_src 0
		.amdhsa_exception_fp_ieee_div_zero 0
		.amdhsa_exception_fp_ieee_overflow 0
		.amdhsa_exception_fp_ieee_underflow 0
		.amdhsa_exception_fp_ieee_inexact 0
		.amdhsa_exception_int_div_zero 0
	.end_amdhsa_kernel
	.section	.text._ZN4RAJA34launch_new_reduce_global_fcn_fixedIZN8rajaperf4apps8MASS3DPA17runHipVariantImplILm25EEEvNS1_9VariantIDEEUlNS_14LaunchContextTINS_3hip33LaunchContextIndicesAndDimsPolicyINS7_14IndicesAndDimsILb0ELb0ELb0ELb0EEEEEEEE_Li25ENS_4expt15ForallParamPackIJEEEEEvT_T1_,"axG",@progbits,_ZN4RAJA34launch_new_reduce_global_fcn_fixedIZN8rajaperf4apps8MASS3DPA17runHipVariantImplILm25EEEvNS1_9VariantIDEEUlNS_14LaunchContextTINS_3hip33LaunchContextIndicesAndDimsPolicyINS7_14IndicesAndDimsILb0ELb0ELb0ELb0EEEEEEEE_Li25ENS_4expt15ForallParamPackIJEEEEEvT_T1_,comdat
.Lfunc_end1:
	.size	_ZN4RAJA34launch_new_reduce_global_fcn_fixedIZN8rajaperf4apps8MASS3DPA17runHipVariantImplILm25EEEvNS1_9VariantIDEEUlNS_14LaunchContextTINS_3hip33LaunchContextIndicesAndDimsPolicyINS7_14IndicesAndDimsILb0ELb0ELb0ELb0EEEEEEEE_Li25ENS_4expt15ForallParamPackIJEEEEEvT_T1_, .Lfunc_end1-_ZN4RAJA34launch_new_reduce_global_fcn_fixedIZN8rajaperf4apps8MASS3DPA17runHipVariantImplILm25EEEvNS1_9VariantIDEEUlNS_14LaunchContextTINS_3hip33LaunchContextIndicesAndDimsPolicyINS7_14IndicesAndDimsILb0ELb0ELb0ELb0EEEEEEEE_Li25ENS_4expt15ForallParamPackIJEEEEEvT_T1_
                                        ; -- End function
	.section	.AMDGPU.csdata,"",@progbits
; Kernel info:
; codeLenInByte = 2568
; NumSgprs: 24
; NumVgprs: 59
; NumAgprs: 0
; TotalNumVgprs: 59
; ScratchSize: 0
; MemoryBound: 0
; FloatMode: 240
; IeeeMode: 1
; LDSByteSize: 2176 bytes/workgroup (compile time only)
; SGPRBlocks: 2
; VGPRBlocks: 7
; NumSGPRsForWavesPerEU: 24
; NumVGPRsForWavesPerEU: 59
; AccumOffset: 60
; Occupancy: 8
; WaveLimiterHint : 1
; COMPUTE_PGM_RSRC2:SCRATCH_EN: 0
; COMPUTE_PGM_RSRC2:USER_SGPR: 6
; COMPUTE_PGM_RSRC2:TRAP_HANDLER: 0
; COMPUTE_PGM_RSRC2:TGID_X_EN: 1
; COMPUTE_PGM_RSRC2:TGID_Y_EN: 0
; COMPUTE_PGM_RSRC2:TGID_Z_EN: 0
; COMPUTE_PGM_RSRC2:TIDIG_COMP_CNT: 1
; COMPUTE_PGM_RSRC3_GFX90A:ACCUM_OFFSET: 14
; COMPUTE_PGM_RSRC3_GFX90A:TG_SPLIT: 0
	.text
	.p2alignl 6, 3212836864
	.fill 256, 4, 3212836864
	.type	__hip_cuid_c39223cda4f49564,@object ; @__hip_cuid_c39223cda4f49564
	.section	.bss,"aw",@nobits
	.globl	__hip_cuid_c39223cda4f49564
__hip_cuid_c39223cda4f49564:
	.byte	0                               ; 0x0
	.size	__hip_cuid_c39223cda4f49564, 1

	.ident	"AMD clang version 19.0.0git (https://github.com/RadeonOpenCompute/llvm-project roc-6.4.0 25133 c7fe45cf4b819c5991fe208aaa96edf142730f1d)"
	.section	".note.GNU-stack","",@progbits
	.addrsig
	.addrsig_sym __hip_cuid_c39223cda4f49564
	.amdgpu_metadata
---
amdhsa.kernels:
  - .agpr_count:     0
    .args:
      - .address_space:  global
        .offset:         0
        .size:           8
        .value_kind:     global_buffer
      - .address_space:  global
        .offset:         8
        .size:           8
        .value_kind:     global_buffer
      - .address_space:  global
        .offset:         16
        .size:           8
        .value_kind:     global_buffer
      - .address_space:  global
        .offset:         24
        .size:           8
        .value_kind:     global_buffer
      - .address_space:  global
        .offset:         32
        .size:           8
        .value_kind:     global_buffer
    .group_segment_fixed_size: 2176
    .kernarg_segment_align: 8
    .kernarg_segment_size: 40
    .language:       OpenCL C
    .language_version:
      - 2
      - 0
    .max_flat_workgroup_size: 25
    .name:           _ZN8rajaperf4apps8Mass3DPAILm25EEEvPdS2_S2_S2_S2_
    .private_segment_fixed_size: 0
    .sgpr_count:     22
    .sgpr_spill_count: 0
    .symbol:         _ZN8rajaperf4apps8Mass3DPAILm25EEEvPdS2_S2_S2_S2_.kd
    .uniform_work_group_size: 1
    .uses_dynamic_stack: false
    .vgpr_count:     59
    .vgpr_spill_count: 0
    .wavefront_size: 64
  - .agpr_count:     0
    .args:
      - .offset:         0
        .size:           48
        .value_kind:     by_value
      - .offset:         48
        .size:           1
        .value_kind:     by_value
    .group_segment_fixed_size: 2176
    .kernarg_segment_align: 8
    .kernarg_segment_size: 52
    .language:       OpenCL C
    .language_version:
      - 2
      - 0
    .max_flat_workgroup_size: 25
    .name:           _ZN4RAJA34launch_new_reduce_global_fcn_fixedIZN8rajaperf4apps8MASS3DPA17runHipVariantImplILm25EEEvNS1_9VariantIDEEUlNS_14LaunchContextTINS_3hip33LaunchContextIndicesAndDimsPolicyINS7_14IndicesAndDimsILb0ELb0ELb0ELb0EEEEEEEE_Li25ENS_4expt15ForallParamPackIJEEEEEvT_T1_
    .private_segment_fixed_size: 0
    .sgpr_count:     24
    .sgpr_spill_count: 0
    .symbol:         _ZN4RAJA34launch_new_reduce_global_fcn_fixedIZN8rajaperf4apps8MASS3DPA17runHipVariantImplILm25EEEvNS1_9VariantIDEEUlNS_14LaunchContextTINS_3hip33LaunchContextIndicesAndDimsPolicyINS7_14IndicesAndDimsILb0ELb0ELb0ELb0EEEEEEEE_Li25ENS_4expt15ForallParamPackIJEEEEEvT_T1_.kd
    .uniform_work_group_size: 1
    .uses_dynamic_stack: false
    .vgpr_count:     59
    .vgpr_spill_count: 0
    .wavefront_size: 64
amdhsa.target:   amdgcn-amd-amdhsa--gfx90a
amdhsa.version:
  - 1
  - 2
...

	.end_amdgpu_metadata
